;; amdgpu-corpus repo=ROCm/rocFFT kind=compiled arch=gfx906 opt=O3
	.text
	.amdgcn_target "amdgcn-amd-amdhsa--gfx906"
	.amdhsa_code_object_version 6
	.protected	fft_rtc_fwd_len286_factors_13_11_2_wgs_52_tpt_26_dp_ip_CI_unitstride_sbrr_dirReg ; -- Begin function fft_rtc_fwd_len286_factors_13_11_2_wgs_52_tpt_26_dp_ip_CI_unitstride_sbrr_dirReg
	.globl	fft_rtc_fwd_len286_factors_13_11_2_wgs_52_tpt_26_dp_ip_CI_unitstride_sbrr_dirReg
	.p2align	8
	.type	fft_rtc_fwd_len286_factors_13_11_2_wgs_52_tpt_26_dp_ip_CI_unitstride_sbrr_dirReg,@function
fft_rtc_fwd_len286_factors_13_11_2_wgs_52_tpt_26_dp_ip_CI_unitstride_sbrr_dirReg: ; @fft_rtc_fwd_len286_factors_13_11_2_wgs_52_tpt_26_dp_ip_CI_unitstride_sbrr_dirReg
; %bb.0:
	s_load_dwordx2 s[12:13], s[4:5], 0x50
	s_load_dwordx4 s[8:11], s[4:5], 0x0
	s_load_dwordx2 s[2:3], s[4:5], 0x18
	v_mul_u32_u24_e32 v1, 0x9d9, v0
	v_lshrrev_b32_e32 v9, 16, v1
	v_mov_b32_e32 v3, 0
	s_waitcnt lgkmcnt(0)
	v_cmp_lt_u64_e64 s[0:1], s[10:11], 2
	v_mov_b32_e32 v1, 0
	v_lshl_add_u32 v5, s6, 1, v9
	v_mov_b32_e32 v6, v3
	s_and_b64 vcc, exec, s[0:1]
	v_mov_b32_e32 v2, 0
	s_cbranch_vccnz .LBB0_8
; %bb.1:
	s_load_dwordx2 s[0:1], s[4:5], 0x10
	s_add_u32 s6, s2, 8
	s_addc_u32 s7, s3, 0
	v_mov_b32_e32 v1, 0
	v_mov_b32_e32 v2, 0
	s_waitcnt lgkmcnt(0)
	s_add_u32 s14, s0, 8
	s_addc_u32 s15, s1, 0
	s_mov_b64 s[16:17], 1
.LBB0_2:                                ; =>This Inner Loop Header: Depth=1
	s_load_dwordx2 s[18:19], s[14:15], 0x0
                                        ; implicit-def: $vgpr7_vgpr8
	s_waitcnt lgkmcnt(0)
	v_or_b32_e32 v4, s19, v6
	v_cmp_ne_u64_e32 vcc, 0, v[3:4]
	s_and_saveexec_b64 s[0:1], vcc
	s_xor_b64 s[20:21], exec, s[0:1]
	s_cbranch_execz .LBB0_4
; %bb.3:                                ;   in Loop: Header=BB0_2 Depth=1
	v_cvt_f32_u32_e32 v4, s18
	v_cvt_f32_u32_e32 v7, s19
	s_sub_u32 s0, 0, s18
	s_subb_u32 s1, 0, s19
	v_mac_f32_e32 v4, 0x4f800000, v7
	v_rcp_f32_e32 v4, v4
	v_mul_f32_e32 v4, 0x5f7ffffc, v4
	v_mul_f32_e32 v7, 0x2f800000, v4
	v_trunc_f32_e32 v7, v7
	v_mac_f32_e32 v4, 0xcf800000, v7
	v_cvt_u32_f32_e32 v7, v7
	v_cvt_u32_f32_e32 v4, v4
	v_mul_lo_u32 v8, s0, v7
	v_mul_hi_u32 v10, s0, v4
	v_mul_lo_u32 v12, s1, v4
	v_mul_lo_u32 v11, s0, v4
	v_add_u32_e32 v8, v10, v8
	v_add_u32_e32 v8, v8, v12
	v_mul_hi_u32 v10, v4, v11
	v_mul_lo_u32 v12, v4, v8
	v_mul_hi_u32 v14, v4, v8
	v_mul_hi_u32 v13, v7, v11
	v_mul_lo_u32 v11, v7, v11
	v_mul_hi_u32 v15, v7, v8
	v_add_co_u32_e32 v10, vcc, v10, v12
	v_addc_co_u32_e32 v12, vcc, 0, v14, vcc
	v_mul_lo_u32 v8, v7, v8
	v_add_co_u32_e32 v10, vcc, v10, v11
	v_addc_co_u32_e32 v10, vcc, v12, v13, vcc
	v_addc_co_u32_e32 v11, vcc, 0, v15, vcc
	v_add_co_u32_e32 v8, vcc, v10, v8
	v_addc_co_u32_e32 v10, vcc, 0, v11, vcc
	v_add_co_u32_e32 v4, vcc, v4, v8
	v_addc_co_u32_e32 v7, vcc, v7, v10, vcc
	v_mul_lo_u32 v8, s0, v7
	v_mul_hi_u32 v10, s0, v4
	v_mul_lo_u32 v11, s1, v4
	v_mul_lo_u32 v12, s0, v4
	v_add_u32_e32 v8, v10, v8
	v_add_u32_e32 v8, v8, v11
	v_mul_lo_u32 v13, v4, v8
	v_mul_hi_u32 v14, v4, v12
	v_mul_hi_u32 v15, v4, v8
	;; [unrolled: 1-line block ×3, first 2 shown]
	v_mul_lo_u32 v12, v7, v12
	v_mul_hi_u32 v10, v7, v8
	v_add_co_u32_e32 v13, vcc, v14, v13
	v_addc_co_u32_e32 v14, vcc, 0, v15, vcc
	v_mul_lo_u32 v8, v7, v8
	v_add_co_u32_e32 v12, vcc, v13, v12
	v_addc_co_u32_e32 v11, vcc, v14, v11, vcc
	v_addc_co_u32_e32 v10, vcc, 0, v10, vcc
	v_add_co_u32_e32 v8, vcc, v11, v8
	v_addc_co_u32_e32 v10, vcc, 0, v10, vcc
	v_add_co_u32_e32 v4, vcc, v4, v8
	v_addc_co_u32_e32 v10, vcc, v7, v10, vcc
	v_mad_u64_u32 v[7:8], s[0:1], v5, v10, 0
	v_mul_hi_u32 v11, v5, v4
	v_add_co_u32_e32 v12, vcc, v11, v7
	v_addc_co_u32_e32 v13, vcc, 0, v8, vcc
	v_mad_u64_u32 v[7:8], s[0:1], v6, v4, 0
	v_mad_u64_u32 v[10:11], s[0:1], v6, v10, 0
	v_add_co_u32_e32 v4, vcc, v12, v7
	v_addc_co_u32_e32 v4, vcc, v13, v8, vcc
	v_addc_co_u32_e32 v7, vcc, 0, v11, vcc
	v_add_co_u32_e32 v4, vcc, v4, v10
	v_addc_co_u32_e32 v10, vcc, 0, v7, vcc
	v_mul_lo_u32 v11, s19, v4
	v_mul_lo_u32 v12, s18, v10
	v_mad_u64_u32 v[7:8], s[0:1], s18, v4, 0
	v_add3_u32 v8, v8, v12, v11
	v_sub_u32_e32 v11, v6, v8
	v_mov_b32_e32 v12, s19
	v_sub_co_u32_e32 v7, vcc, v5, v7
	v_subb_co_u32_e64 v11, s[0:1], v11, v12, vcc
	v_subrev_co_u32_e64 v12, s[0:1], s18, v7
	v_subbrev_co_u32_e64 v11, s[0:1], 0, v11, s[0:1]
	v_cmp_le_u32_e64 s[0:1], s19, v11
	v_cndmask_b32_e64 v13, 0, -1, s[0:1]
	v_cmp_le_u32_e64 s[0:1], s18, v12
	v_cndmask_b32_e64 v12, 0, -1, s[0:1]
	v_cmp_eq_u32_e64 s[0:1], s19, v11
	v_cndmask_b32_e64 v11, v13, v12, s[0:1]
	v_add_co_u32_e64 v12, s[0:1], 2, v4
	v_addc_co_u32_e64 v13, s[0:1], 0, v10, s[0:1]
	v_add_co_u32_e64 v14, s[0:1], 1, v4
	v_addc_co_u32_e64 v15, s[0:1], 0, v10, s[0:1]
	v_subb_co_u32_e32 v8, vcc, v6, v8, vcc
	v_cmp_ne_u32_e64 s[0:1], 0, v11
	v_cmp_le_u32_e32 vcc, s19, v8
	v_cndmask_b32_e64 v11, v15, v13, s[0:1]
	v_cndmask_b32_e64 v13, 0, -1, vcc
	v_cmp_le_u32_e32 vcc, s18, v7
	v_cndmask_b32_e64 v7, 0, -1, vcc
	v_cmp_eq_u32_e32 vcc, s19, v8
	v_cndmask_b32_e32 v7, v13, v7, vcc
	v_cmp_ne_u32_e32 vcc, 0, v7
	v_cndmask_b32_e64 v7, v14, v12, s[0:1]
	v_cndmask_b32_e32 v8, v10, v11, vcc
	v_cndmask_b32_e32 v7, v4, v7, vcc
.LBB0_4:                                ;   in Loop: Header=BB0_2 Depth=1
	s_andn2_saveexec_b64 s[0:1], s[20:21]
	s_cbranch_execz .LBB0_6
; %bb.5:                                ;   in Loop: Header=BB0_2 Depth=1
	v_cvt_f32_u32_e32 v4, s18
	s_sub_i32 s20, 0, s18
	v_rcp_iflag_f32_e32 v4, v4
	v_mul_f32_e32 v4, 0x4f7ffffe, v4
	v_cvt_u32_f32_e32 v4, v4
	v_mul_lo_u32 v7, s20, v4
	v_mul_hi_u32 v7, v4, v7
	v_add_u32_e32 v4, v4, v7
	v_mul_hi_u32 v4, v5, v4
	v_mul_lo_u32 v7, v4, s18
	v_add_u32_e32 v8, 1, v4
	v_sub_u32_e32 v7, v5, v7
	v_subrev_u32_e32 v10, s18, v7
	v_cmp_le_u32_e32 vcc, s18, v7
	v_cndmask_b32_e32 v7, v7, v10, vcc
	v_cndmask_b32_e32 v4, v4, v8, vcc
	v_add_u32_e32 v8, 1, v4
	v_cmp_le_u32_e32 vcc, s18, v7
	v_cndmask_b32_e32 v7, v4, v8, vcc
	v_mov_b32_e32 v8, v3
.LBB0_6:                                ;   in Loop: Header=BB0_2 Depth=1
	s_or_b64 exec, exec, s[0:1]
	v_mul_lo_u32 v4, v8, s18
	v_mul_lo_u32 v12, v7, s19
	v_mad_u64_u32 v[10:11], s[0:1], v7, s18, 0
	s_load_dwordx2 s[0:1], s[6:7], 0x0
	s_add_u32 s16, s16, 1
	v_add3_u32 v4, v11, v12, v4
	v_sub_co_u32_e32 v5, vcc, v5, v10
	v_subb_co_u32_e32 v4, vcc, v6, v4, vcc
	s_waitcnt lgkmcnt(0)
	v_mul_lo_u32 v4, s0, v4
	v_mul_lo_u32 v6, s1, v5
	v_mad_u64_u32 v[1:2], s[0:1], s0, v5, v[1:2]
	s_addc_u32 s17, s17, 0
	s_add_u32 s6, s6, 8
	v_add3_u32 v2, v6, v2, v4
	v_mov_b32_e32 v4, s10
	v_mov_b32_e32 v5, s11
	s_addc_u32 s7, s7, 0
	v_cmp_ge_u64_e32 vcc, s[16:17], v[4:5]
	s_add_u32 s14, s14, 8
	s_addc_u32 s15, s15, 0
	s_cbranch_vccnz .LBB0_9
; %bb.7:                                ;   in Loop: Header=BB0_2 Depth=1
	v_mov_b32_e32 v5, v7
	v_mov_b32_e32 v6, v8
	s_branch .LBB0_2
.LBB0_8:
	v_mov_b32_e32 v8, v6
	v_mov_b32_e32 v7, v5
.LBB0_9:
	s_lshl_b64 s[0:1], s[10:11], 3
	s_add_u32 s0, s2, s0
	s_addc_u32 s1, s3, s1
	s_load_dwordx2 s[2:3], s[0:1], 0x0
	s_load_dwordx2 s[6:7], s[4:5], 0x20
	v_and_b32_e32 v5, 1, v9
	v_mov_b32_e32 v6, 0x11e
	v_cmp_eq_u32_e32 vcc, 1, v5
	s_waitcnt lgkmcnt(0)
	v_mul_lo_u32 v3, s2, v8
	v_mul_lo_u32 v4, s3, v7
	v_mad_u64_u32 v[1:2], s[0:1], s2, v7, v[1:2]
	s_mov_b32 s0, 0x9d89d8a
	v_cndmask_b32_e32 v165, 0, v6, vcc
	v_add3_u32 v2, v4, v2, v3
	v_mul_hi_u32 v3, v0, s0
	v_cmp_gt_u64_e64 s[0:1], s[6:7], v[7:8]
	v_lshlrev_b64 v[68:69], 4, v[1:2]
	v_lshlrev_b32_e32 v167, 4, v165
	v_mul_u32_u24_e32 v3, 26, v3
	v_sub_u32_e32 v70, v0, v3
	v_lshlrev_b32_e32 v0, 4, v70
	s_and_saveexec_b64 s[2:3], s[0:1]
	s_cbranch_execz .LBB0_11
; %bb.10:
	v_mov_b32_e32 v71, 0
	v_mov_b32_e32 v1, s13
	v_add_co_u32_e32 v3, vcc, s12, v68
	v_addc_co_u32_e32 v4, vcc, v1, v69, vcc
	v_lshlrev_b64 v[1:2], 4, v[70:71]
	v_add3_u32 v45, 0, v167, v0
	v_add_co_u32_e32 v41, vcc, v3, v1
	v_addc_co_u32_e32 v42, vcc, v4, v2, vcc
	global_load_dwordx4 v[1:4], v[41:42], off
	global_load_dwordx4 v[5:8], v[41:42], off offset:416
	global_load_dwordx4 v[9:12], v[41:42], off offset:832
	;; [unrolled: 1-line block ×9, first 2 shown]
	v_add_co_u32_e32 v41, vcc, 0x1000, v41
	v_addc_co_u32_e32 v42, vcc, 0, v42, vcc
	global_load_dwordx4 v[41:44], v[41:42], off offset:64
	s_waitcnt vmcnt(10)
	ds_write_b128 v45, v[1:4]
	s_waitcnt vmcnt(9)
	ds_write_b128 v45, v[5:8] offset:416
	s_waitcnt vmcnt(8)
	ds_write_b128 v45, v[9:12] offset:832
	;; [unrolled: 2-line block ×10, first 2 shown]
.LBB0_11:
	s_or_b64 exec, exec, s[2:3]
	v_add_u32_e32 v166, 0, v0
	v_add_u32_e32 v163, v166, v167
	s_waitcnt lgkmcnt(0)
	; wave barrier
	s_waitcnt lgkmcnt(0)
	ds_read_b128 v[4:7], v163 offset:4224
	ds_read_b128 v[12:15], v163 offset:352
	;; [unrolled: 1-line block ×4, first 2 shown]
	s_mov_b32 s2, 0x42a4c3d2
	s_mov_b32 s3, 0xbfea55e2
	s_waitcnt lgkmcnt(2)
	v_add_f64 v[75:76], v[14:15], -v[6:7]
	v_add_f64 v[73:74], v[12:13], -v[4:5]
	v_add_f64 v[71:72], v[12:13], v[4:5]
	s_waitcnt lgkmcnt(0)
	v_add_f64 v[81:82], v[30:31], -v[10:11]
	v_add_f64 v[111:112], v[14:15], v[6:7]
	v_add_f64 v[79:80], v[28:29], -v[8:9]
	v_add3_u32 v164, 0, v167, v0
	ds_read_b128 v[16:19], v164
	v_mul_f64 v[119:120], v[75:76], s[2:3]
	v_mul_f64 v[129:130], v[73:74], s[2:3]
	ds_read_b128 v[24:27], v163 offset:1056
	ds_read_b128 v[20:23], v163 offset:3520
	s_mov_b32 s10, 0x1ea71119
	s_mov_b32 s4, 0x2ef20147
	;; [unrolled: 1-line block ×4, first 2 shown]
	v_add_f64 v[77:78], v[28:29], v[8:9]
	v_fma_f64 v[0:1], v[71:72], s[10:11], v[119:120]
	v_mul_f64 v[117:118], v[81:82], s[4:5]
	v_fma_f64 v[2:3], v[111:112], s[10:11], -v[129:130]
	v_add_f64 v[115:116], v[30:31], v[10:11]
	v_mul_f64 v[131:132], v[79:80], s[4:5]
	s_waitcnt lgkmcnt(0)
	v_add_f64 v[83:84], v[26:27], -v[22:23]
	v_add_f64 v[87:88], v[24:25], -v[20:21]
	s_mov_b32 s6, 0xb2365da1
	s_mov_b32 s14, 0x4bc48dbf
	;; [unrolled: 1-line block ×4, first 2 shown]
	v_add_f64 v[0:1], v[16:17], v[0:1]
	v_fma_f64 v[40:41], v[77:78], s[6:7], v[117:118]
	v_add_f64 v[2:3], v[18:19], v[2:3]
	v_fma_f64 v[42:43], v[115:116], s[6:7], -v[131:132]
	v_add_f64 v[85:86], v[24:25], v[20:21]
	v_mul_f64 v[95:96], v[83:84], s[14:15]
	v_add_f64 v[93:94], v[26:27], v[22:23]
	v_mul_f64 v[125:126], v[87:88], s[14:15]
	ds_read_b128 v[32:35], v163 offset:3168
	ds_read_b128 v[36:39], v163 offset:1408
	s_mov_b32 s16, 0x93053d00
	s_mov_b32 s17, 0xbfef11f4
	v_add_f64 v[0:1], v[40:41], v[0:1]
	v_add_f64 v[2:3], v[42:43], v[2:3]
	s_waitcnt lgkmcnt(0)
	v_add_f64 v[101:102], v[38:39], -v[34:35]
	v_add_f64 v[91:92], v[36:37], -v[32:33]
	ds_read_b128 v[44:47], v163 offset:1760
	ds_read_b128 v[40:43], v163 offset:2816
	v_fma_f64 v[48:49], v[85:86], s[16:17], v[95:96]
	v_fma_f64 v[50:51], v[93:94], s[16:17], -v[125:126]
	s_mov_b32 s22, 0x24c2f84
	s_mov_b32 s23, 0x3fe5384d
	v_add_f64 v[89:90], v[36:37], v[32:33]
	v_mul_f64 v[113:114], v[101:102], s[22:23]
	v_add_f64 v[109:110], v[38:39], v[34:35]
	v_mul_f64 v[139:140], v[91:92], s[22:23]
	s_waitcnt lgkmcnt(0)
	v_add_f64 v[103:104], v[46:47], -v[42:43]
	v_add_f64 v[99:100], v[44:45], -v[40:41]
	v_add_f64 v[0:1], v[48:49], v[0:1]
	v_add_f64 v[2:3], v[50:51], v[2:3]
	ds_read_b128 v[52:55], v163 offset:2112
	ds_read_b128 v[48:51], v163 offset:2464
	s_mov_b32 s20, 0xd0032e0c
	s_mov_b32 s26, 0x66966769
	;; [unrolled: 1-line block ×4, first 2 shown]
	v_fma_f64 v[56:57], v[89:90], s[20:21], v[113:114]
	v_fma_f64 v[58:59], v[109:110], s[20:21], -v[139:140]
	v_add_f64 v[97:98], v[44:45], v[40:41]
	v_mul_f64 v[121:122], v[103:104], s[26:27]
	v_add_f64 v[127:128], v[46:47], v[42:43]
	v_mul_f64 v[147:148], v[99:100], s[26:27]
	s_waitcnt lgkmcnt(0)
	v_add_f64 v[123:124], v[54:55], -v[50:51]
	v_add_f64 v[105:106], v[52:53], -v[48:49]
	s_mov_b32 s24, 0xebaa3ed8
	s_mov_b32 s40, 0x4267c47c
	;; [unrolled: 1-line block ×4, first 2 shown]
	v_add_f64 v[0:1], v[56:57], v[0:1]
	v_add_f64 v[2:3], v[58:59], v[2:3]
	v_fma_f64 v[56:57], v[97:98], s[24:25], v[121:122]
	v_fma_f64 v[58:59], v[127:128], s[24:25], -v[147:148]
	v_add_f64 v[107:108], v[52:53], v[48:49]
	v_mul_f64 v[135:136], v[123:124], s[40:41]
	v_add_f64 v[133:134], v[54:55], v[50:51]
	v_mul_f64 v[153:154], v[105:106], s[40:41]
	s_mov_b32 s28, 0xe00740e9
	s_mov_b32 s29, 0x3fec55a7
	v_add_f64 v[0:1], v[56:57], v[0:1]
	v_add_f64 v[2:3], v[58:59], v[2:3]
	v_cmp_gt_u32_e32 vcc, 22, v70
	v_fma_f64 v[56:57], v[107:108], s[28:29], v[135:136]
	v_fma_f64 v[58:59], v[133:134], s[28:29], -v[153:154]
	; wave barrier
	v_add_f64 v[0:1], v[56:57], v[0:1]
	v_add_f64 v[2:3], v[58:59], v[2:3]
	s_and_saveexec_b64 s[18:19], vcc
	s_cbranch_execz .LBB0_13
; %bb.12:
	v_mul_f64 v[56:57], v[111:112], s[16:17]
	s_mov_b32 s31, 0x3fcea1e5
	s_mov_b32 s30, s14
	v_mul_f64 v[60:61], v[115:116], s[28:29]
	v_mul_f64 v[170:171], v[75:76], s[14:15]
	s_mov_b32 s37, 0xbfddbe06
	s_mov_b32 s36, s40
	v_mul_f64 v[180:181], v[81:82], s[40:41]
	v_fma_f64 v[62:63], v[73:74], s[30:31], v[56:57]
	s_mov_b32 s39, 0xbfe5384d
	s_mov_b32 s38, s22
	v_fma_f64 v[172:173], v[79:80], s[36:37], v[60:61]
	v_fma_f64 v[182:183], v[71:72], s[16:17], v[170:171]
	v_mul_f64 v[168:169], v[93:94], s[20:21]
	v_fma_f64 v[56:57], v[73:74], s[14:15], v[56:57]
	v_fma_f64 v[188:189], v[77:78], s[28:29], v[180:181]
	v_add_f64 v[62:63], v[18:19], v[62:63]
	s_mov_b32 s45, 0x3fea55e2
	s_mov_b32 s44, s2
	v_mul_f64 v[66:67], v[109:110], s[10:11]
	v_add_f64 v[182:183], v[16:17], v[182:183]
	v_fma_f64 v[186:187], v[87:88], s[22:23], v[168:169]
	v_fma_f64 v[60:61], v[79:80], s[40:41], v[60:61]
	v_add_f64 v[56:57], v[18:19], v[56:57]
	v_add_f64 v[62:63], v[172:173], v[62:63]
	v_mul_f64 v[172:173], v[83:84], s[38:39]
	v_fma_f64 v[170:171], v[71:72], s[16:17], -v[170:171]
	v_mul_f64 v[190:191], v[101:102], s[44:45]
	v_add_f64 v[182:183], v[188:189], v[182:183]
	v_fma_f64 v[178:179], v[91:92], s[2:3], v[66:67]
	v_fma_f64 v[168:169], v[87:88], s[38:39], v[168:169]
	v_add_f64 v[56:57], v[60:61], v[56:57]
	v_add_f64 v[62:63], v[186:187], v[62:63]
	v_fma_f64 v[192:193], v[85:86], s[20:21], v[172:173]
	v_fma_f64 v[60:61], v[77:78], s[28:29], -v[180:181]
	v_add_f64 v[170:171], v[16:17], v[170:171]
	v_mul_f64 v[180:181], v[103:104], s[4:5]
	v_fma_f64 v[186:187], v[89:90], s[10:11], v[190:191]
	v_mul_f64 v[64:65], v[127:128], s[6:7]
	v_fma_f64 v[66:67], v[91:92], s[44:45], v[66:67]
	v_add_f64 v[62:63], v[178:179], v[62:63]
	v_add_f64 v[182:183], v[192:193], v[182:183]
	;; [unrolled: 1-line block ×3, first 2 shown]
	v_fma_f64 v[168:169], v[85:86], s[20:21], -v[172:173]
	v_add_f64 v[60:61], v[60:61], v[170:171]
	v_mul_f64 v[170:171], v[123:124], s[26:27]
	v_fma_f64 v[172:173], v[97:98], s[6:7], v[180:181]
	s_mov_b32 s43, 0x3fedeba7
	s_mov_b32 s42, s4
	v_add_f64 v[178:179], v[186:187], v[182:183]
	v_mul_f64 v[58:59], v[133:134], s[24:25]
	v_fma_f64 v[174:175], v[99:100], s[42:43], v[64:65]
	v_fma_f64 v[64:65], v[99:100], s[4:5], v[64:65]
	v_add_f64 v[56:57], v[66:67], v[56:57]
	v_fma_f64 v[66:67], v[89:90], s[10:11], -v[190:191]
	v_add_f64 v[60:61], v[168:169], v[60:61]
	v_fma_f64 v[168:169], v[107:108], s[24:25], v[170:171]
	v_add_f64 v[172:173], v[172:173], v[178:179]
	s_mov_b32 s35, 0xbfefc445
	s_mov_b32 s34, s26
	v_fma_f64 v[182:183], v[105:106], s[34:35], v[58:59]
	v_add_f64 v[62:63], v[174:175], v[62:63]
	v_mul_f64 v[178:179], v[111:112], s[20:21]
	v_add_f64 v[64:65], v[64:65], v[56:57]
	v_fma_f64 v[180:181], v[97:98], s[6:7], -v[180:181]
	v_add_f64 v[60:61], v[66:67], v[60:61]
	v_add_f64 v[56:57], v[168:169], v[172:173]
	v_mul_f64 v[168:169], v[75:76], s[38:39]
	v_fma_f64 v[174:175], v[105:106], s[26:27], v[58:59]
	v_add_f64 v[58:59], v[182:183], v[62:63]
	v_mul_f64 v[66:67], v[115:116], s[24:25]
	v_fma_f64 v[172:173], v[73:74], s[22:23], v[178:179]
	v_mul_f64 v[194:195], v[83:84], s[2:3]
	v_add_f64 v[60:61], v[180:181], v[60:61]
	v_mul_f64 v[180:181], v[81:82], s[26:27]
	v_fma_f64 v[182:183], v[71:72], s[20:21], v[168:169]
	v_add_f64 v[62:63], v[174:175], v[64:65]
	v_fma_f64 v[64:65], v[107:108], s[24:25], -v[170:171]
	v_mul_f64 v[170:171], v[93:94], s[10:11]
	v_fma_f64 v[174:175], v[79:80], s[34:35], v[66:67]
	v_add_f64 v[172:173], v[18:19], v[172:173]
	v_mul_f64 v[190:191], v[109:110], s[16:17]
	v_fma_f64 v[196:197], v[77:78], s[24:25], v[180:181]
	v_add_f64 v[182:183], v[16:17], v[182:183]
	v_mul_f64 v[198:199], v[101:102], s[30:31]
	v_fma_f64 v[178:179], v[73:74], s[38:39], v[178:179]
	v_fma_f64 v[192:193], v[87:88], s[44:45], v[170:171]
	;; [unrolled: 1-line block ×3, first 2 shown]
	v_add_f64 v[172:173], v[174:175], v[172:173]
	v_fma_f64 v[168:169], v[71:72], s[20:21], -v[168:169]
	v_mul_f64 v[186:187], v[127:128], s[28:29]
	v_add_f64 v[182:183], v[196:197], v[182:183]
	v_fma_f64 v[200:201], v[91:92], s[14:15], v[190:191]
	v_fma_f64 v[196:197], v[89:90], s[16:17], v[198:199]
	v_fma_f64 v[66:67], v[79:80], s[26:27], v[66:67]
	v_add_f64 v[178:179], v[18:19], v[178:179]
	v_add_f64 v[172:173], v[192:193], v[172:173]
	v_mul_f64 v[192:193], v[103:104], s[40:41]
	v_fma_f64 v[180:181], v[77:78], s[24:25], -v[180:181]
	v_add_f64 v[168:169], v[16:17], v[168:169]
	v_add_f64 v[182:183], v[202:203], v[182:183]
	v_mul_f64 v[188:189], v[133:134], s[6:7]
	v_fma_f64 v[174:175], v[99:100], s[36:37], v[186:187]
	v_add_f64 v[66:67], v[66:67], v[178:179]
	v_add_f64 v[172:173], v[200:201], v[172:173]
	v_mul_f64 v[200:201], v[123:124], s[4:5]
	v_fma_f64 v[202:203], v[97:98], s[28:29], v[192:193]
	v_fma_f64 v[178:179], v[85:86], s[10:11], -v[194:195]
	v_add_f64 v[168:169], v[180:181], v[168:169]
	v_add_f64 v[180:181], v[196:197], v[182:183]
	v_fma_f64 v[170:171], v[87:88], s[2:3], v[170:171]
	v_fma_f64 v[182:183], v[105:106], s[42:43], v[188:189]
	v_add_f64 v[172:173], v[174:175], v[172:173]
	v_fma_f64 v[174:175], v[107:108], s[6:7], v[200:201]
	v_fma_f64 v[194:195], v[89:90], s[16:17], -v[198:199]
	v_fma_f64 v[190:191], v[91:92], s[30:31], v[190:191]
	v_add_f64 v[168:169], v[178:179], v[168:169]
	v_add_f64 v[178:179], v[202:203], v[180:181]
	;; [unrolled: 1-line block ×5, first 2 shown]
	v_mul_f64 v[180:181], v[111:112], s[6:7]
	v_fma_f64 v[182:183], v[97:98], s[28:29], -v[192:193]
	v_fma_f64 v[172:173], v[99:100], s[40:41], v[186:187]
	v_add_f64 v[168:169], v[194:195], v[168:169]
	v_add_f64 v[64:65], v[174:175], v[178:179]
	v_mul_f64 v[174:175], v[75:76], s[4:5]
	v_add_f64 v[170:171], v[190:191], v[170:171]
	v_fma_f64 v[178:179], v[105:106], s[4:5], v[188:189]
	v_mul_f64 v[186:187], v[115:116], s[20:21]
	v_fma_f64 v[188:189], v[73:74], s[42:43], v[180:181]
	v_mul_f64 v[192:193], v[93:94], s[28:29]
	v_add_f64 v[168:169], v[182:183], v[168:169]
	v_mul_f64 v[182:183], v[81:82], s[22:23]
	v_fma_f64 v[190:191], v[71:72], s[6:7], v[174:175]
	v_add_f64 v[170:171], v[172:173], v[170:171]
	v_fma_f64 v[172:173], v[107:108], s[6:7], -v[200:201]
	v_fma_f64 v[194:195], v[79:80], s[38:39], v[186:187]
	v_add_f64 v[188:189], v[18:19], v[188:189]
	v_mul_f64 v[200:201], v[83:84], s[40:41]
	v_fma_f64 v[180:181], v[73:74], s[4:5], v[180:181]
	v_fma_f64 v[202:203], v[77:78], s[20:21], v[182:183]
	v_add_f64 v[190:191], v[16:17], v[190:191]
	v_mul_f64 v[204:205], v[109:110], s[24:25]
	v_fma_f64 v[206:207], v[87:88], s[36:37], v[192:193]
	v_mul_f64 v[208:209], v[101:102], s[34:35]
	v_add_f64 v[188:189], v[194:195], v[188:189]
	v_fma_f64 v[210:211], v[85:86], s[28:29], v[200:201]
	v_fma_f64 v[186:187], v[79:80], s[22:23], v[186:187]
	v_add_f64 v[180:181], v[18:19], v[180:181]
	v_add_f64 v[190:191], v[202:203], v[190:191]
	v_fma_f64 v[202:203], v[91:92], s[26:27], v[204:205]
	v_fma_f64 v[192:193], v[87:88], s[40:41], v[192:193]
	;; [unrolled: 1-line block ×3, first 2 shown]
	v_add_f64 v[188:189], v[206:207], v[188:189]
	v_mul_f64 v[206:207], v[103:104], s[30:31]
	v_fma_f64 v[174:175], v[71:72], s[6:7], -v[174:175]
	v_add_f64 v[180:181], v[186:187], v[180:181]
	v_add_f64 v[190:191], v[210:211], v[190:191]
	;; [unrolled: 1-line block ×4, first 2 shown]
	v_mul_f64 v[196:197], v[127:128], s[16:17]
	v_add_f64 v[188:189], v[202:203], v[188:189]
	v_mul_f64 v[186:187], v[123:124], s[44:45]
	v_fma_f64 v[202:203], v[97:98], s[16:17], v[206:207]
	v_fma_f64 v[204:205], v[91:92], s[34:35], v[204:205]
	v_add_f64 v[190:191], v[212:213], v[190:191]
	v_add_f64 v[180:181], v[192:193], v[180:181]
	v_fma_f64 v[182:183], v[77:78], s[20:21], -v[182:183]
	v_add_f64 v[174:175], v[16:17], v[174:175]
	v_add_f64 v[14:15], v[14:15], v[30:31]
	;; [unrolled: 1-line block ×3, first 2 shown]
	v_mul_f64 v[198:199], v[133:134], s[10:11]
	v_fma_f64 v[192:193], v[107:108], s[10:11], v[186:187]
	v_add_f64 v[190:191], v[202:203], v[190:191]
	v_add_f64 v[170:171], v[178:179], v[170:171]
	v_fma_f64 v[178:179], v[99:100], s[30:31], v[196:197]
	v_add_f64 v[180:181], v[204:205], v[180:181]
	v_fma_f64 v[194:195], v[99:100], s[14:15], v[196:197]
	v_fma_f64 v[200:201], v[85:86], s[28:29], -v[200:201]
	v_add_f64 v[174:175], v[182:183], v[174:175]
	v_add_f64 v[14:15], v[14:15], v[26:27]
	;; [unrolled: 1-line block ×3, first 2 shown]
	v_mul_f64 v[176:177], v[111:112], s[10:11]
	v_add_f64 v[168:169], v[172:173], v[168:169]
	v_add_f64 v[172:173], v[192:193], v[190:191]
	v_fma_f64 v[192:193], v[105:106], s[44:45], v[198:199]
	v_add_f64 v[178:179], v[178:179], v[180:181]
	v_fma_f64 v[182:183], v[105:106], s[2:3], v[198:199]
	v_add_f64 v[188:189], v[194:195], v[188:189]
	v_fma_f64 v[194:195], v[89:90], s[24:25], -v[208:209]
	v_add_f64 v[200:201], v[200:201], v[174:175]
	v_add_f64 v[14:15], v[14:15], v[38:39]
	;; [unrolled: 1-line block ×3, first 2 shown]
	v_mul_f64 v[159:160], v[71:72], s[10:11]
	v_mul_f64 v[161:162], v[115:116], s[6:7]
	v_add_f64 v[178:179], v[192:193], v[178:179]
	v_add_f64 v[192:193], v[129:130], v[176:177]
	;; [unrolled: 1-line block ×3, first 2 shown]
	v_fma_f64 v[182:183], v[97:98], s[16:17], -v[206:207]
	v_add_f64 v[188:189], v[194:195], v[200:201]
	v_mul_f64 v[190:191], v[111:112], s[24:25]
	v_add_f64 v[14:15], v[14:15], v[46:47]
	v_add_f64 v[36:37], v[36:37], v[44:45]
	v_mul_f64 v[149:150], v[77:78], s[6:7]
	v_mul_f64 v[155:156], v[93:94], s[16:17]
	v_add_f64 v[131:132], v[131:132], v[161:162]
	v_add_f64 v[161:162], v[18:19], v[192:193]
	v_add_f64 v[119:120], v[159:160], -v[119:120]
	v_mul_f64 v[111:112], v[111:112], s[28:29]
	v_mul_f64 v[44:45], v[75:76], s[36:37]
	;; [unrolled: 1-line block ×4, first 2 shown]
	v_add_f64 v[182:183], v[182:183], v[188:189]
	v_fma_f64 v[188:189], v[73:74], s[26:27], v[190:191]
	v_fma_f64 v[190:191], v[73:74], s[34:35], v[190:191]
	v_add_f64 v[14:15], v[14:15], v[54:55]
	v_add_f64 v[36:37], v[36:37], v[52:53]
	v_mul_f64 v[145:146], v[85:86], s[16:17]
	v_mul_f64 v[151:152], v[109:110], s[20:21]
	;; [unrolled: 1-line block ×3, first 2 shown]
	v_add_f64 v[125:126], v[125:126], v[155:156]
	v_add_f64 v[131:132], v[131:132], v[161:162]
	v_add_f64 v[117:118], v[149:150], -v[117:118]
	v_add_f64 v[119:120], v[16:17], v[119:120]
	v_mul_f64 v[115:116], v[115:116], s[10:11]
	v_fma_f64 v[149:150], v[73:74], s[40:41], v[111:112]
	v_fma_f64 v[73:74], v[73:74], s[36:37], v[111:112]
	v_mul_f64 v[81:82], v[81:82], s[2:3]
	v_fma_f64 v[52:53], v[71:72], s[28:29], -v[44:45]
	v_mul_f64 v[200:201], v[93:94], s[6:7]
	v_fma_f64 v[206:207], v[71:72], s[24:25], v[194:195]
	v_fma_f64 v[208:209], v[79:80], s[30:31], v[196:197]
	v_add_f64 v[188:189], v[18:19], v[188:189]
	v_fma_f64 v[196:197], v[79:80], s[14:15], v[196:197]
	v_add_f64 v[190:191], v[18:19], v[190:191]
	v_fma_f64 v[194:195], v[71:72], s[24:25], -v[194:195]
	v_fma_f64 v[44:45], v[71:72], s[28:29], v[44:45]
	v_add_f64 v[14:15], v[14:15], v[50:51]
	v_add_f64 v[36:37], v[36:37], v[48:49]
	v_mul_f64 v[143:144], v[89:90], s[20:21]
	v_mul_f64 v[157:158], v[127:128], s[24:25]
	v_add_f64 v[139:140], v[139:140], v[151:152]
	v_add_f64 v[125:126], v[125:126], v[131:132]
	v_add_f64 v[95:96], v[145:146], -v[95:96]
	v_add_f64 v[117:118], v[117:118], v[119:120]
	v_mul_f64 v[93:94], v[93:94], s[24:25]
	v_add_f64 v[131:132], v[18:19], v[149:150]
	v_mul_f64 v[54:55], v[83:84], s[34:35]
	v_fma_f64 v[71:72], v[79:80], s[2:3], v[115:116]
	v_add_f64 v[18:19], v[18:19], v[73:74]
	v_fma_f64 v[73:74], v[77:78], s[10:11], -v[81:82]
	v_add_f64 v[48:49], v[16:17], v[52:53]
	v_mul_f64 v[210:211], v[109:110], s[28:29]
	v_fma_f64 v[212:213], v[87:88], s[4:5], v[200:201]
	v_mul_f64 v[214:215], v[83:84], s[42:43]
	v_fma_f64 v[216:217], v[77:78], s[16:17], v[204:205]
	v_add_f64 v[206:207], v[16:17], v[206:207]
	v_add_f64 v[188:189], v[208:209], v[188:189]
	v_fma_f64 v[200:201], v[87:88], s[42:43], v[200:201]
	v_add_f64 v[190:191], v[196:197], v[190:191]
	v_fma_f64 v[204:205], v[77:78], s[16:17], -v[204:205]
	v_add_f64 v[194:195], v[16:17], v[194:195]
	v_fma_f64 v[119:120], v[79:80], s[44:45], v[115:116]
	v_fma_f64 v[50:51], v[77:78], s[10:11], v[81:82]
	v_add_f64 v[16:17], v[16:17], v[44:45]
	v_add_f64 v[14:15], v[14:15], v[42:43]
	;; [unrolled: 1-line block ×3, first 2 shown]
	v_mul_f64 v[141:142], v[97:98], s[24:25]
	v_mul_f64 v[218:219], v[101:102], s[40:41]
	v_add_f64 v[147:148], v[147:148], v[157:158]
	v_add_f64 v[28:29], v[139:140], v[125:126]
	v_add_f64 v[30:31], v[143:144], -v[113:114]
	v_add_f64 v[95:96], v[95:96], v[117:118]
	v_mul_f64 v[109:110], v[109:110], s[6:7]
	v_mul_f64 v[101:102], v[101:102], s[4:5]
	v_fma_f64 v[44:45], v[87:88], s[34:35], v[93:94]
	v_add_f64 v[18:19], v[71:72], v[18:19]
	v_fma_f64 v[52:53], v[85:86], s[24:25], -v[54:55]
	v_add_f64 v[40:41], v[73:74], v[48:49]
	v_mul_f64 v[180:181], v[127:128], s[10:11]
	v_fma_f64 v[208:209], v[91:92], s[36:37], v[210:211]
	v_fma_f64 v[220:221], v[85:86], s[6:7], v[214:215]
	v_add_f64 v[206:207], v[216:217], v[206:207]
	v_add_f64 v[188:189], v[212:213], v[188:189]
	v_fma_f64 v[210:211], v[91:92], s[40:41], v[210:211]
	v_add_f64 v[190:191], v[200:201], v[190:191]
	v_fma_f64 v[214:215], v[85:86], s[6:7], -v[214:215]
	v_add_f64 v[194:195], v[204:205], v[194:195]
	v_fma_f64 v[113:114], v[87:88], s[26:27], v[93:94]
	v_add_f64 v[117:118], v[119:120], v[131:132]
	v_fma_f64 v[42:43], v[85:86], s[24:25], v[54:55]
	v_add_f64 v[16:17], v[50:51], v[16:17]
	v_add_f64 v[14:15], v[14:15], v[34:35]
	;; [unrolled: 1-line block ×4, first 2 shown]
	v_add_f64 v[26:27], v[141:142], -v[121:122]
	v_add_f64 v[28:29], v[30:31], v[95:96]
	v_mul_f64 v[30:31], v[127:128], s[20:21]
	v_mul_f64 v[75:76], v[103:104], s[38:39]
	v_fma_f64 v[48:49], v[91:92], s[4:5], v[109:110]
	v_add_f64 v[18:19], v[44:45], v[18:19]
	v_fma_f64 v[44:45], v[89:90], s[6:7], -v[101:102]
	v_add_f64 v[34:35], v[52:53], v[40:41]
	v_mul_f64 v[184:185], v[133:134], s[28:29]
	v_fma_f64 v[186:187], v[107:108], s[10:11], -v[186:187]
	v_mul_f64 v[198:199], v[133:134], s[20:21]
	v_fma_f64 v[202:203], v[99:100], s[44:45], v[180:181]
	v_mul_f64 v[196:197], v[103:104], s[2:3]
	v_fma_f64 v[212:213], v[89:90], s[28:29], v[218:219]
	v_add_f64 v[206:207], v[220:221], v[206:207]
	v_add_f64 v[188:189], v[208:209], v[188:189]
	;; [unrolled: 1-line block ×3, first 2 shown]
	v_fma_f64 v[210:211], v[89:90], s[28:29], -v[218:219]
	v_add_f64 v[194:195], v[214:215], v[194:195]
	v_fma_f64 v[95:96], v[91:92], s[42:43], v[109:110]
	v_add_f64 v[113:114], v[113:114], v[117:118]
	v_fma_f64 v[36:37], v[89:90], s[6:7], v[101:102]
	v_add_f64 v[16:17], v[42:43], v[16:17]
	v_add_f64 v[14:15], v[14:15], v[22:23]
	;; [unrolled: 1-line block ×4, first 2 shown]
	v_mul_f64 v[28:29], v[133:134], s[16:17]
	v_fma_f64 v[38:39], v[99:100], s[22:23], v[30:31]
	v_mul_f64 v[46:47], v[123:124], s[14:15]
	v_fma_f64 v[30:31], v[99:100], s[38:39], v[30:31]
	v_add_f64 v[18:19], v[48:49], v[18:19]
	v_fma_f64 v[40:41], v[97:98], s[20:21], -v[75:76]
	v_add_f64 v[22:23], v[44:45], v[34:35]
	v_mul_f64 v[137:138], v[107:108], s[28:29]
	v_add_f64 v[153:154], v[153:154], v[184:185]
	v_mul_f64 v[200:201], v[123:124], s[38:39]
	v_add_f64 v[204:205], v[212:213], v[206:207]
	v_fma_f64 v[180:181], v[99:100], s[2:3], v[180:181]
	v_fma_f64 v[206:207], v[105:106], s[22:23], v[198:199]
	v_add_f64 v[188:189], v[202:203], v[188:189]
	v_add_f64 v[176:177], v[186:187], v[182:183]
	v_fma_f64 v[186:187], v[97:98], s[10:11], -v[196:197]
	v_add_f64 v[194:195], v[210:211], v[194:195]
	v_fma_f64 v[208:209], v[97:98], s[10:11], v[196:197]
	v_add_f64 v[95:96], v[95:96], v[113:114]
	v_fma_f64 v[32:33], v[97:98], s[20:21], v[75:76]
	v_add_f64 v[16:17], v[36:37], v[16:17]
	v_add_f64 v[10:11], v[14:15], v[10:11]
	v_add_f64 v[14:15], v[20:21], v[8:9]
	v_fma_f64 v[34:35], v[105:106], s[14:15], v[28:29]
	v_add_f64 v[18:19], v[30:31], v[18:19]
	v_fma_f64 v[30:31], v[107:108], s[16:17], -v[46:47]
	v_add_f64 v[20:21], v[40:41], v[22:23]
	v_add_f64 v[12:13], v[153:154], v[24:25]
	v_add_f64 v[24:25], v[137:138], -v[135:136]
	v_fma_f64 v[198:199], v[105:106], s[38:39], v[198:199]
	v_add_f64 v[190:191], v[180:181], v[190:191]
	v_add_f64 v[182:183], v[206:207], v[188:189]
	v_fma_f64 v[188:189], v[107:108], s[20:21], -v[200:201]
	v_add_f64 v[159:160], v[186:187], v[194:195]
	v_fma_f64 v[202:203], v[107:108], s[20:21], v[200:201]
	v_add_f64 v[204:205], v[208:209], v[204:205]
	v_fma_f64 v[22:23], v[105:106], s[30:31], v[28:29]
	;; [unrolled: 2-line block ×3, first 2 shown]
	v_add_f64 v[32:33], v[32:33], v[16:17]
	v_add_f64 v[16:17], v[10:11], v[6:7]
	;; [unrolled: 1-line block ×8, first 2 shown]
	v_mul_u32_u24_e32 v4, 0xc0, v70
	v_add3_u32 v4, v166, v4, v167
	v_add_f64 v[180:181], v[202:203], v[204:205]
	v_add_f64 v[20:21], v[22:23], v[28:29]
	;; [unrolled: 1-line block ×3, first 2 shown]
	ds_write_b128 v4, v[14:17]
	ds_write_b128 v4, v[6:9] offset:16
	ds_write_b128 v4, v[10:13] offset:32
	;; [unrolled: 1-line block ×12, first 2 shown]
.LBB0_13:
	s_or_b64 exec, exec, s[18:19]
	v_add_u32_e32 v48, -13, v70
	v_cmp_gt_u32_e32 vcc, 13, v70
	v_cndmask_b32_e32 v8, v48, v70, vcc
	v_mul_i32_i24_e32 v49, 10, v8
	v_mov_b32_e32 v50, 0
	v_lshlrev_b64 v[4:5], 4, v[49:50]
	v_mov_b32_e32 v6, s9
	v_add_co_u32_e64 v45, s[2:3], s8, v4
	v_addc_co_u32_e64 v46, s[2:3], v6, v5, s[2:3]
	s_waitcnt lgkmcnt(0)
	; wave barrier
	s_waitcnt lgkmcnt(0)
	global_load_dwordx4 v[4:7], v[45:46], off
	global_load_dwordx4 v[9:12], v[45:46], off offset:16
	global_load_dwordx4 v[13:16], v[45:46], off offset:32
	;; [unrolled: 1-line block ×9, first 2 shown]
	ds_read_b128 v[51:54], v164
	ds_read_b128 v[55:58], v163 offset:416
	ds_read_b128 v[59:62], v163 offset:832
	ds_read_b128 v[63:66], v163 offset:1248
	ds_read_b128 v[71:74], v163 offset:1664
	ds_read_b128 v[75:78], v163 offset:2080
	ds_read_b128 v[79:82], v163 offset:2496
	ds_read_b128 v[83:86], v163 offset:2912
	ds_read_b128 v[87:90], v163 offset:3328
	ds_read_b128 v[91:94], v163 offset:3744
	ds_read_b128 v[95:98], v163 offset:4160
	s_mov_b32 s22, 0xf8bb580b
	s_mov_b32 s23, 0xbfe14ced
	;; [unrolled: 1-line block ×26, first 2 shown]
	v_lshlrev_b32_e32 v8, 4, v8
	s_waitcnt lgkmcnt(0)
	; wave barrier
	s_waitcnt vmcnt(9) lgkmcnt(0)
	v_mul_f64 v[45:46], v[57:58], v[6:7]
	v_mul_f64 v[6:7], v[55:56], v[6:7]
	s_waitcnt vmcnt(8)
	v_mul_f64 v[99:100], v[61:62], v[11:12]
	v_mul_f64 v[11:12], v[59:60], v[11:12]
	s_waitcnt vmcnt(7)
	;; [unrolled: 3-line block ×9, first 2 shown]
	v_mul_f64 v[115:116], v[97:98], v[43:44]
	v_mul_f64 v[43:44], v[95:96], v[43:44]
	v_fma_f64 v[45:46], v[55:56], v[4:5], -v[45:46]
	v_fma_f64 v[4:5], v[57:58], v[4:5], v[6:7]
	v_fma_f64 v[6:7], v[59:60], v[9:10], -v[99:100]
	v_fma_f64 v[9:10], v[61:62], v[9:10], v[11:12]
	v_fma_f64 v[55:56], v[63:64], v[13:14], -v[101:102]
	v_fma_f64 v[13:14], v[65:66], v[13:14], v[15:16]
	v_fma_f64 v[15:16], v[71:72], v[17:18], -v[103:104]
	v_fma_f64 v[17:18], v[73:74], v[17:18], v[19:20]
	v_fma_f64 v[19:20], v[75:76], v[21:22], -v[105:106]
	v_fma_f64 v[21:22], v[77:78], v[21:22], v[23:24]
	v_fma_f64 v[23:24], v[79:80], v[25:26], -v[107:108]
	v_fma_f64 v[25:26], v[81:82], v[25:26], v[27:28]
	v_fma_f64 v[27:28], v[83:84], v[29:30], -v[109:110]
	v_fma_f64 v[29:30], v[85:86], v[29:30], v[31:32]
	v_fma_f64 v[11:12], v[95:96], v[41:42], -v[115:116]
	v_fma_f64 v[31:32], v[97:98], v[41:42], v[43:44]
	v_fma_f64 v[41:42], v[87:88], v[33:34], -v[111:112]
	v_fma_f64 v[33:34], v[89:90], v[33:34], v[35:36]
	v_fma_f64 v[35:36], v[91:92], v[37:38], -v[113:114]
	v_fma_f64 v[37:38], v[93:94], v[37:38], v[39:40]
	v_add_f64 v[39:40], v[51:52], v[45:46]
	v_add_f64 v[43:44], v[53:54], v[4:5]
	;; [unrolled: 1-line block ×4, first 2 shown]
	v_add_f64 v[4:5], v[4:5], -v[31:32]
	v_add_f64 v[45:46], v[45:46], -v[11:12]
	v_add_f64 v[61:62], v[6:7], v[35:36]
	v_add_f64 v[63:64], v[9:10], v[37:38]
	v_add_f64 v[65:66], v[6:7], -v[35:36]
	v_add_f64 v[71:72], v[9:10], -v[37:38]
	v_add_f64 v[6:7], v[39:40], v[6:7]
	v_add_f64 v[9:10], v[43:44], v[9:10]
	v_mul_f64 v[39:40], v[4:5], s[22:23]
	v_mul_f64 v[43:44], v[45:46], s[22:23]
	;; [unrolled: 1-line block ×6, first 2 shown]
	v_add_f64 v[6:7], v[6:7], v[55:56]
	v_add_f64 v[9:10], v[9:10], v[13:14]
	v_mul_f64 v[81:82], v[4:5], s[18:19]
	v_mul_f64 v[83:84], v[45:46], s[18:19]
	;; [unrolled: 1-line block ×6, first 2 shown]
	v_add_f64 v[6:7], v[6:7], v[15:16]
	v_add_f64 v[9:10], v[9:10], v[17:18]
	v_fma_f64 v[91:92], v[57:58], s[14:15], -v[39:40]
	v_fma_f64 v[93:94], v[59:60], s[14:15], v[43:44]
	v_fma_f64 v[43:44], v[59:60], s[14:15], -v[43:44]
	v_mul_f64 v[89:90], v[71:72], s[18:19]
	v_fma_f64 v[39:40], v[57:58], s[14:15], v[39:40]
	v_fma_f64 v[95:96], v[57:58], s[2:3], -v[73:74]
	v_add_f64 v[6:7], v[6:7], v[19:20]
	v_add_f64 v[9:10], v[9:10], v[21:22]
	v_fma_f64 v[97:98], v[59:60], s[2:3], v[75:76]
	v_fma_f64 v[73:74], v[57:58], s[2:3], v[73:74]
	v_fma_f64 v[75:76], v[59:60], s[2:3], -v[75:76]
	v_fma_f64 v[99:100], v[57:58], s[4:5], -v[77:78]
	v_fma_f64 v[101:102], v[59:60], s[4:5], v[79:80]
	v_fma_f64 v[77:78], v[57:58], s[4:5], v[77:78]
	v_add_f64 v[6:7], v[6:7], v[23:24]
	v_add_f64 v[9:10], v[9:10], v[25:26]
	v_fma_f64 v[79:80], v[59:60], s[4:5], -v[79:80]
	v_fma_f64 v[103:104], v[57:58], s[16:17], -v[81:82]
	v_fma_f64 v[105:106], v[59:60], s[16:17], v[83:84]
	v_fma_f64 v[81:82], v[57:58], s[16:17], v[81:82]
	v_fma_f64 v[83:84], v[59:60], s[16:17], -v[83:84]
	v_fma_f64 v[107:108], v[57:58], s[20:21], -v[4:5]
	v_add_f64 v[6:7], v[6:7], v[27:28]
	v_add_f64 v[9:10], v[9:10], v[29:30]
	v_fma_f64 v[109:110], v[59:60], s[20:21], v[45:46]
	v_fma_f64 v[4:5], v[57:58], s[20:21], v[4:5]
	v_fma_f64 v[45:46], v[59:60], s[20:21], -v[45:46]
	v_fma_f64 v[57:58], v[61:62], s[2:3], -v[85:86]
	v_fma_f64 v[59:60], v[63:64], s[2:3], v[87:88]
	v_add_f64 v[91:92], v[51:52], v[91:92]
	v_add_f64 v[6:7], v[6:7], v[41:42]
	v_add_f64 v[9:10], v[9:10], v[33:34]
	v_add_f64 v[93:94], v[53:54], v[93:94]
	v_add_f64 v[43:44], v[53:54], v[43:44]
	v_add_f64 v[39:40], v[51:52], v[39:40]
	v_add_f64 v[95:96], v[51:52], v[95:96]
	v_add_f64 v[97:98], v[53:54], v[97:98]
	v_add_f64 v[73:74], v[51:52], v[73:74]
	v_add_f64 v[6:7], v[6:7], v[35:36]
	v_add_f64 v[35:36], v[9:10], v[37:38]
	v_add_f64 v[75:76], v[53:54], v[75:76]
	v_add_f64 v[99:100], v[51:52], v[99:100]
	v_add_f64 v[101:102], v[53:54], v[101:102]
	v_add_f64 v[77:78], v[51:52], v[77:78]
	v_add_f64 v[79:80], v[53:54], v[79:80]
	v_add_f64 v[37:38], v[51:52], v[103:104]
	v_add_f64 v[9:10], v[6:7], v[11:12]
	v_add_f64 v[11:12], v[35:36], v[31:32]
	v_fma_f64 v[31:32], v[63:64], s[2:3], -v[87:88]
	v_add_f64 v[103:104], v[53:54], v[105:106]
	v_add_f64 v[81:82], v[51:52], v[81:82]
	;; [unrolled: 1-line block ×5, first 2 shown]
	v_fma_f64 v[6:7], v[61:62], s[2:3], v[85:86]
	v_fma_f64 v[35:36], v[61:62], s[16:17], -v[89:90]
	v_mul_f64 v[85:86], v[65:66], s[18:19]
	v_add_f64 v[4:5], v[51:52], v[4:5]
	v_add_f64 v[45:46], v[53:54], v[45:46]
	;; [unrolled: 1-line block ×5, first 2 shown]
	v_mul_f64 v[43:44], v[71:72], s[30:31]
	v_mul_f64 v[57:58], v[65:66], s[30:31]
	;; [unrolled: 1-line block ×3, first 2 shown]
	v_add_f64 v[6:7], v[6:7], v[39:40]
	v_add_f64 v[35:36], v[35:36], v[95:96]
	v_fma_f64 v[39:40], v[63:64], s[16:17], v[85:86]
	v_fma_f64 v[87:88], v[61:62], s[16:17], v[89:90]
	v_fma_f64 v[85:86], v[63:64], s[16:17], -v[85:86]
	v_fma_f64 v[89:90], v[61:62], s[20:21], -v[43:44]
	v_fma_f64 v[91:92], v[63:64], s[20:21], v[57:58]
	v_fma_f64 v[57:58], v[63:64], s[20:21], -v[57:58]
	v_fma_f64 v[93:94], v[61:62], s[4:5], -v[59:60]
	v_mul_f64 v[95:96], v[65:66], s[28:29]
	v_fma_f64 v[59:60], v[61:62], s[4:5], v[59:60]
	v_mul_f64 v[71:72], v[71:72], s[26:27]
	v_mul_f64 v[65:66], v[65:66], s[26:27]
	v_fma_f64 v[43:44], v[61:62], s[20:21], v[43:44]
	v_add_f64 v[73:74], v[87:88], v[73:74]
	v_add_f64 v[75:76], v[85:86], v[75:76]
	;; [unrolled: 1-line block ×6, first 2 shown]
	v_add_f64 v[79:80], v[13:14], -v[33:34]
	v_fma_f64 v[89:90], v[63:64], s[4:5], -v[95:96]
	v_add_f64 v[91:92], v[55:56], -v[41:42]
	v_add_f64 v[59:60], v[59:60], v[81:82]
	v_fma_f64 v[81:82], v[61:62], s[14:15], -v[71:72]
	v_fma_f64 v[93:94], v[63:64], s[14:15], v[65:66]
	v_add_f64 v[43:44], v[43:44], v[77:78]
	v_fma_f64 v[77:78], v[63:64], s[4:5], v[95:96]
	v_add_f64 v[41:42], v[55:56], v[41:42]
	v_mul_f64 v[55:56], v[79:80], s[6:7]
	v_add_f64 v[83:84], v[89:90], v[83:84]
	v_add_f64 v[13:14], v[13:14], v[33:34]
	v_mul_f64 v[33:34], v[91:92], s[6:7]
	v_fma_f64 v[61:62], v[61:62], s[14:15], v[71:72]
	v_fma_f64 v[63:64], v[63:64], s[14:15], -v[65:66]
	v_add_f64 v[71:72], v[81:82], v[105:106]
	v_add_f64 v[81:82], v[93:94], v[107:108]
	v_mul_f64 v[89:90], v[79:80], s[30:31]
	v_mul_f64 v[93:94], v[91:92], s[30:31]
	v_add_f64 v[39:40], v[39:40], v[97:98]
	v_fma_f64 v[65:66], v[41:42], s[4:5], -v[55:56]
	v_fma_f64 v[95:96], v[13:14], s[4:5], v[33:34]
	v_add_f64 v[4:5], v[61:62], v[4:5]
	v_add_f64 v[45:46], v[63:64], v[45:46]
	v_fma_f64 v[55:56], v[41:42], s[4:5], v[55:56]
	v_fma_f64 v[33:34], v[13:14], s[4:5], -v[33:34]
	v_fma_f64 v[61:62], v[41:42], s[20:21], -v[89:90]
	v_fma_f64 v[63:64], v[13:14], s[20:21], v[93:94]
	s_mov_b32 s11, 0x3fed1bb4
	v_add_f64 v[51:52], v[65:66], v[51:52]
	v_mul_f64 v[65:66], v[79:80], s[10:11]
	v_add_f64 v[77:78], v[77:78], v[103:104]
	v_add_f64 v[6:7], v[55:56], v[6:7]
	;; [unrolled: 1-line block ×5, first 2 shown]
	v_fma_f64 v[39:40], v[41:42], s[20:21], v[89:90]
	v_fma_f64 v[55:56], v[13:14], s[20:21], -v[93:94]
	v_mul_f64 v[89:90], v[79:80], s[22:23]
	v_mul_f64 v[93:94], v[91:92], s[22:23]
	v_add_f64 v[53:54], v[95:96], v[53:54]
	v_mul_f64 v[95:96], v[91:92], s[10:11]
	v_fma_f64 v[61:62], v[41:42], s[2:3], -v[65:66]
	v_fma_f64 v[65:66], v[41:42], s[2:3], v[65:66]
	v_add_f64 v[39:40], v[39:40], v[73:74]
	v_add_f64 v[55:56], v[55:56], v[75:76]
	v_fma_f64 v[73:74], v[41:42], s[14:15], -v[89:90]
	v_fma_f64 v[75:76], v[13:14], s[14:15], v[93:94]
	v_fma_f64 v[63:64], v[13:14], s[2:3], v[95:96]
	v_fma_f64 v[95:96], v[13:14], s[2:3], -v[95:96]
	v_add_f64 v[43:44], v[65:66], v[43:44]
	v_mul_f64 v[65:66], v[79:80], s[18:19]
	v_mul_f64 v[79:80], v[91:92], s[18:19]
	v_add_f64 v[37:38], v[73:74], v[37:38]
	v_add_f64 v[73:74], v[75:76], v[77:78]
	v_add_f64 v[75:76], v[17:18], -v[29:30]
	v_add_f64 v[77:78], v[15:16], -v[27:28]
	v_add_f64 v[61:62], v[61:62], v[85:86]
	v_add_f64 v[63:64], v[63:64], v[87:88]
	v_fma_f64 v[85:86], v[41:42], s[14:15], v[89:90]
	v_fma_f64 v[87:88], v[13:14], s[14:15], -v[93:94]
	v_fma_f64 v[91:92], v[13:14], s[16:17], v[79:80]
	v_add_f64 v[15:16], v[15:16], v[27:28]
	v_add_f64 v[17:18], v[17:18], v[29:30]
	v_mul_f64 v[27:28], v[75:76], s[18:19]
	v_mul_f64 v[29:30], v[77:78], s[18:19]
	v_fma_f64 v[13:14], v[13:14], s[16:17], -v[79:80]
	v_mul_f64 v[79:80], v[77:78], s[28:29]
	v_add_f64 v[59:60], v[85:86], v[59:60]
	v_add_f64 v[83:84], v[87:88], v[83:84]
	v_fma_f64 v[89:90], v[41:42], s[16:17], -v[65:66]
	v_fma_f64 v[41:42], v[41:42], s[16:17], v[65:66]
	v_fma_f64 v[85:86], v[15:16], s[16:17], -v[27:28]
	v_fma_f64 v[87:88], v[17:18], s[16:17], v[29:30]
	v_fma_f64 v[27:28], v[15:16], s[16:17], v[27:28]
	v_fma_f64 v[29:30], v[17:18], s[16:17], -v[29:30]
	v_add_f64 v[13:14], v[13:14], v[45:46]
	v_fma_f64 v[45:46], v[17:18], s[4:5], v[79:80]
	v_mul_f64 v[65:66], v[75:76], s[28:29]
	v_add_f64 v[57:58], v[95:96], v[57:58]
	v_add_f64 v[81:82], v[91:92], v[81:82]
	;; [unrolled: 1-line block ×5, first 2 shown]
	v_mul_f64 v[29:30], v[75:76], s[22:23]
	v_mul_f64 v[31:32], v[77:78], s[22:23]
	v_add_f64 v[35:36], v[45:46], v[35:36]
	v_mul_f64 v[45:46], v[77:78], s[24:25]
	v_fma_f64 v[41:42], v[15:16], s[4:5], -v[65:66]
	v_add_f64 v[51:52], v[85:86], v[51:52]
	v_add_f64 v[53:54], v[87:88], v[53:54]
	v_fma_f64 v[65:66], v[15:16], s[4:5], v[65:66]
	v_fma_f64 v[85:86], v[15:16], s[14:15], -v[29:30]
	v_fma_f64 v[87:88], v[17:18], s[14:15], v[31:32]
	v_fma_f64 v[29:30], v[15:16], s[14:15], v[29:30]
	v_fma_f64 v[31:32], v[17:18], s[14:15], -v[31:32]
	v_fma_f64 v[91:92], v[17:18], s[20:21], v[45:46]
	v_add_f64 v[33:34], v[41:42], v[33:34]
	v_mul_f64 v[41:42], v[75:76], s[24:25]
	v_fma_f64 v[79:80], v[17:18], s[4:5], -v[79:80]
	v_add_f64 v[39:40], v[65:66], v[39:40]
	v_add_f64 v[65:66], v[19:20], -v[23:24]
	v_add_f64 v[29:30], v[29:30], v[43:44]
	v_add_f64 v[31:32], v[31:32], v[57:58]
	;; [unrolled: 1-line block ×3, first 2 shown]
	v_add_f64 v[57:58], v[21:22], -v[25:26]
	v_mul_f64 v[73:74], v[75:76], s[10:11]
	v_mul_f64 v[75:76], v[77:78], s[10:11]
	v_add_f64 v[71:72], v[89:90], v[71:72]
	v_fma_f64 v[89:90], v[15:16], s[20:21], -v[41:42]
	v_add_f64 v[55:56], v[79:80], v[55:56]
	v_fma_f64 v[41:42], v[15:16], s[20:21], v[41:42]
	v_add_f64 v[77:78], v[19:20], v[23:24]
	v_add_f64 v[79:80], v[21:22], v[25:26]
	v_mul_f64 v[19:20], v[57:58], s[24:25]
	v_mul_f64 v[21:22], v[65:66], s[24:25]
	v_fma_f64 v[23:24], v[15:16], s[2:3], -v[73:74]
	v_fma_f64 v[25:26], v[17:18], s[2:3], v[75:76]
	v_fma_f64 v[45:46], v[17:18], s[20:21], -v[45:46]
	v_add_f64 v[41:42], v[41:42], v[59:60]
	v_fma_f64 v[15:16], v[15:16], s[2:3], v[73:74]
	v_fma_f64 v[17:18], v[17:18], s[2:3], -v[75:76]
	v_fma_f64 v[59:60], v[77:78], s[20:21], -v[19:20]
	v_fma_f64 v[73:74], v[79:80], s[20:21], v[21:22]
	v_add_f64 v[71:72], v[23:24], v[71:72]
	v_mul_f64 v[23:24], v[57:58], s[26:27]
	v_add_f64 v[75:76], v[25:26], v[81:82]
	v_mul_f64 v[25:26], v[65:66], s[26:27]
	v_add_f64 v[45:46], v[45:46], v[83:84]
	v_add_f64 v[81:82], v[15:16], v[4:5]
	;; [unrolled: 1-line block ×5, first 2 shown]
	v_fma_f64 v[4:5], v[77:78], s[20:21], v[19:20]
	v_fma_f64 v[17:18], v[79:80], s[20:21], -v[21:22]
	v_fma_f64 v[19:20], v[77:78], s[14:15], -v[23:24]
	v_mul_f64 v[51:52], v[57:58], s[18:19]
	v_mul_f64 v[53:54], v[65:66], s[18:19]
	v_fma_f64 v[21:22], v[79:80], s[14:15], v[25:26]
	v_fma_f64 v[23:24], v[77:78], s[14:15], v[23:24]
	v_add_f64 v[61:62], v[85:86], v[61:62]
	v_add_f64 v[63:64], v[87:88], v[63:64]
	v_fma_f64 v[25:26], v[79:80], s[14:15], -v[25:26]
	v_add_f64 v[4:5], v[4:5], v[6:7]
	v_add_f64 v[6:7], v[17:18], v[27:28]
	;; [unrolled: 1-line block ×3, first 2 shown]
	v_fma_f64 v[27:28], v[77:78], s[16:17], -v[51:52]
	v_fma_f64 v[33:34], v[79:80], s[16:17], v[53:54]
	v_add_f64 v[19:20], v[21:22], v[35:36]
	v_add_f64 v[21:22], v[23:24], v[39:40]
	v_fma_f64 v[35:36], v[77:78], s[16:17], v[51:52]
	v_fma_f64 v[39:40], v[79:80], s[16:17], -v[53:54]
	v_mul_f64 v[51:52], v[57:58], s[10:11]
	v_mul_f64 v[53:54], v[65:66], s[10:11]
	v_add_f64 v[23:24], v[25:26], v[55:56]
	v_add_f64 v[25:26], v[27:28], v[61:62]
	;; [unrolled: 1-line block ×3, first 2 shown]
	v_mul_f64 v[33:34], v[57:58], s[6:7]
	v_mul_f64 v[55:56], v[65:66], s[6:7]
	v_add_f64 v[37:38], v[89:90], v[37:38]
	v_add_f64 v[29:30], v[35:36], v[29:30]
	;; [unrolled: 1-line block ×3, first 2 shown]
	v_fma_f64 v[35:36], v[77:78], s[2:3], -v[51:52]
	v_fma_f64 v[39:40], v[79:80], s[2:3], v[53:54]
	v_fma_f64 v[53:54], v[79:80], s[2:3], -v[53:54]
	v_fma_f64 v[51:52], v[77:78], s[2:3], v[51:52]
	;; [unrolled: 2-line block ×3, first 2 shown]
	v_fma_f64 v[61:62], v[77:78], s[4:5], v[33:34]
	v_fma_f64 v[55:56], v[79:80], s[4:5], -v[55:56]
	v_add_f64 v[33:34], v[35:36], v[37:38]
	v_add_f64 v[35:36], v[39:40], v[43:44]
	;; [unrolled: 1-line block ×3, first 2 shown]
	v_mov_b32_e32 v45, 0x8f0
	v_cmp_lt_u32_e64 s[2:3], 12, v70
	v_add_f64 v[37:38], v[51:52], v[41:42]
	v_add_f64 v[41:42], v[57:58], v[71:72]
	;; [unrolled: 1-line block ×3, first 2 shown]
	v_cndmask_b32_e64 v45, 0, v45, s[2:3]
	v_add_f64 v[51:52], v[61:62], v[81:82]
	v_add_f64 v[53:54], v[55:56], v[83:84]
	v_add_u32_e32 v45, 0, v45
	v_add3_u32 v8, v45, v8, v167
	ds_write_b128 v8, v[9:12]
	ds_write_b128 v8, v[13:16] offset:208
	ds_write_b128 v8, v[17:20] offset:416
	;; [unrolled: 1-line block ×10, first 2 shown]
	s_waitcnt lgkmcnt(0)
	; wave barrier
	s_waitcnt lgkmcnt(0)
	ds_read_b128 v[8:11], v164
	ds_read_b128 v[12:15], v163 offset:416
	ds_read_b128 v[28:31], v163 offset:2704
	;; [unrolled: 1-line block ×9, first 2 shown]
	s_and_saveexec_b64 s[2:3], vcc
	s_cbranch_execz .LBB0_15
; %bb.14:
	ds_read_b128 v[4:7], v163 offset:2080
	ds_read_b128 v[0:3], v163 offset:4368
	v_add_u32_e32 v48, 0x82, v70
.LBB0_15:
	s_or_b64 exec, exec, s[2:3]
	v_mov_b32_e32 v71, v50
	v_lshlrev_b64 v[50:51], 4, v[70:71]
	v_mov_b32_e32 v49, s9
	v_add_co_u32_e64 v74, s[2:3], s8, v50
	v_addc_co_u32_e64 v75, s[2:3], v49, v51, s[2:3]
	global_load_dwordx4 v[52:55], v[74:75], off offset:2080
	global_load_dwordx4 v[56:59], v[74:75], off offset:2496
	global_load_dwordx4 v[60:63], v[74:75], off offset:2912
	global_load_dwordx4 v[64:67], v[74:75], off offset:3328
	global_load_dwordx4 v[70:73], v[74:75], off offset:3744
	v_lshl_add_u32 v49, v165, 4, v166
	s_waitcnt lgkmcnt(0)
	; wave barrier
	s_waitcnt vmcnt(4) lgkmcnt(0)
	v_mul_f64 v[74:75], v[46:47], v[54:55]
	v_mul_f64 v[54:55], v[44:45], v[54:55]
	s_waitcnt vmcnt(3)
	v_mul_f64 v[76:77], v[30:31], v[58:59]
	v_mul_f64 v[58:59], v[28:29], v[58:59]
	s_waitcnt vmcnt(2)
	;; [unrolled: 3-line block ×4, first 2 shown]
	v_mul_f64 v[82:83], v[38:39], v[72:73]
	v_mul_f64 v[72:73], v[36:37], v[72:73]
	v_fma_f64 v[44:45], v[44:45], v[52:53], -v[74:75]
	v_fma_f64 v[46:47], v[46:47], v[52:53], v[54:55]
	v_fma_f64 v[52:53], v[28:29], v[56:57], -v[76:77]
	v_fma_f64 v[54:55], v[30:31], v[56:57], v[58:59]
	;; [unrolled: 2-line block ×5, first 2 shown]
	v_add_f64 v[28:29], v[8:9], -v[44:45]
	v_add_f64 v[30:31], v[10:11], -v[46:47]
	;; [unrolled: 1-line block ×10, first 2 shown]
	v_fma_f64 v[8:9], v[8:9], 2.0, -v[28:29]
	v_fma_f64 v[10:11], v[10:11], 2.0, -v[30:31]
	v_fma_f64 v[12:13], v[12:13], 2.0, -v[32:33]
	v_fma_f64 v[14:15], v[14:15], 2.0, -v[34:35]
	v_fma_f64 v[20:21], v[20:21], 2.0, -v[36:37]
	v_fma_f64 v[22:23], v[22:23], 2.0, -v[38:39]
	v_fma_f64 v[16:17], v[16:17], 2.0, -v[40:41]
	v_fma_f64 v[18:19], v[18:19], 2.0, -v[42:43]
	v_fma_f64 v[24:25], v[24:25], 2.0, -v[44:45]
	v_fma_f64 v[26:27], v[26:27], 2.0, -v[46:47]
	ds_write_b128 v163, v[28:31] offset:2288
	ds_write_b128 v49, v[32:35] offset:2704
	;; [unrolled: 1-line block ×4, first 2 shown]
	ds_write_b128 v163, v[8:11]
	ds_write_b128 v163, v[12:15] offset:416
	ds_write_b128 v163, v[20:23] offset:832
	;; [unrolled: 1-line block ×5, first 2 shown]
	s_and_saveexec_b64 s[2:3], vcc
	s_cbranch_execz .LBB0_17
; %bb.16:
	v_mov_b32_e32 v49, 0
	v_lshlrev_b64 v[8:9], 4, v[48:49]
	v_mov_b32_e32 v10, s9
	v_add_co_u32_e32 v8, vcc, s8, v8
	v_addc_co_u32_e32 v9, vcc, v10, v9, vcc
	global_load_dwordx4 v[8:11], v[8:9], off offset:2080
	s_waitcnt vmcnt(0)
	v_mul_f64 v[12:13], v[0:1], v[10:11]
	v_mul_f64 v[10:11], v[2:3], v[10:11]
	v_fma_f64 v[2:3], v[2:3], v[8:9], v[12:13]
	v_fma_f64 v[0:1], v[0:1], v[8:9], -v[10:11]
	v_add_f64 v[2:3], v[6:7], -v[2:3]
	v_add_f64 v[0:1], v[4:5], -v[0:1]
	v_fma_f64 v[6:7], v[6:7], 2.0, -v[2:3]
	v_fma_f64 v[4:5], v[4:5], 2.0, -v[0:1]
	ds_write_b128 v163, v[4:7] offset:2080
	ds_write_b128 v163, v[0:3] offset:4368
.LBB0_17:
	s_or_b64 exec, exec, s[2:3]
	s_waitcnt lgkmcnt(0)
	; wave barrier
	s_waitcnt lgkmcnt(0)
	s_and_saveexec_b64 s[2:3], s[0:1]
	s_cbranch_execz .LBB0_19
; %bb.18:
	ds_read_b128 v[0:3], v164
	v_mov_b32_e32 v4, s13
	v_add_co_u32_e32 v5, vcc, s12, v68
	v_addc_co_u32_e32 v4, vcc, v4, v69, vcc
	v_add_co_u32_e32 v20, vcc, v5, v50
	v_addc_co_u32_e32 v21, vcc, v4, v51, vcc
	ds_read_b128 v[4:7], v164 offset:416
	ds_read_b128 v[8:11], v164 offset:832
	;; [unrolled: 1-line block ×3, first 2 shown]
	s_waitcnt lgkmcnt(3)
	global_store_dwordx4 v[20:21], v[0:3], off
	ds_read_b128 v[0:3], v164 offset:1664
	s_waitcnt lgkmcnt(3)
	global_store_dwordx4 v[20:21], v[4:7], off offset:416
	s_waitcnt lgkmcnt(2)
	global_store_dwordx4 v[20:21], v[8:11], off offset:832
	;; [unrolled: 2-line block ×3, first 2 shown]
	ds_read_b128 v[4:7], v164 offset:2080
	s_waitcnt lgkmcnt(1)
	global_store_dwordx4 v[20:21], v[0:3], off offset:1664
	ds_read_b128 v[0:3], v164 offset:2496
	ds_read_b128 v[8:11], v164 offset:2912
	;; [unrolled: 1-line block ×4, first 2 shown]
	s_waitcnt lgkmcnt(4)
	global_store_dwordx4 v[20:21], v[4:7], off offset:2080
	s_waitcnt lgkmcnt(3)
	global_store_dwordx4 v[20:21], v[0:3], off offset:2496
	;; [unrolled: 2-line block ×5, first 2 shown]
	ds_read_b128 v[0:3], v164 offset:4160
	v_add_co_u32_e32 v4, vcc, 0x1000, v20
	v_addc_co_u32_e32 v5, vcc, 0, v21, vcc
	s_waitcnt lgkmcnt(0)
	global_store_dwordx4 v[4:5], v[0:3], off offset:64
.LBB0_19:
	s_endpgm
	.section	.rodata,"a",@progbits
	.p2align	6, 0x0
	.amdhsa_kernel fft_rtc_fwd_len286_factors_13_11_2_wgs_52_tpt_26_dp_ip_CI_unitstride_sbrr_dirReg
		.amdhsa_group_segment_fixed_size 0
		.amdhsa_private_segment_fixed_size 0
		.amdhsa_kernarg_size 88
		.amdhsa_user_sgpr_count 6
		.amdhsa_user_sgpr_private_segment_buffer 1
		.amdhsa_user_sgpr_dispatch_ptr 0
		.amdhsa_user_sgpr_queue_ptr 0
		.amdhsa_user_sgpr_kernarg_segment_ptr 1
		.amdhsa_user_sgpr_dispatch_id 0
		.amdhsa_user_sgpr_flat_scratch_init 0
		.amdhsa_user_sgpr_private_segment_size 0
		.amdhsa_uses_dynamic_stack 0
		.amdhsa_system_sgpr_private_segment_wavefront_offset 0
		.amdhsa_system_sgpr_workgroup_id_x 1
		.amdhsa_system_sgpr_workgroup_id_y 0
		.amdhsa_system_sgpr_workgroup_id_z 0
		.amdhsa_system_sgpr_workgroup_info 0
		.amdhsa_system_vgpr_workitem_id 0
		.amdhsa_next_free_vgpr 222
		.amdhsa_next_free_sgpr 46
		.amdhsa_reserve_vcc 1
		.amdhsa_reserve_flat_scratch 0
		.amdhsa_float_round_mode_32 0
		.amdhsa_float_round_mode_16_64 0
		.amdhsa_float_denorm_mode_32 3
		.amdhsa_float_denorm_mode_16_64 3
		.amdhsa_dx10_clamp 1
		.amdhsa_ieee_mode 1
		.amdhsa_fp16_overflow 0
		.amdhsa_exception_fp_ieee_invalid_op 0
		.amdhsa_exception_fp_denorm_src 0
		.amdhsa_exception_fp_ieee_div_zero 0
		.amdhsa_exception_fp_ieee_overflow 0
		.amdhsa_exception_fp_ieee_underflow 0
		.amdhsa_exception_fp_ieee_inexact 0
		.amdhsa_exception_int_div_zero 0
	.end_amdhsa_kernel
	.text
.Lfunc_end0:
	.size	fft_rtc_fwd_len286_factors_13_11_2_wgs_52_tpt_26_dp_ip_CI_unitstride_sbrr_dirReg, .Lfunc_end0-fft_rtc_fwd_len286_factors_13_11_2_wgs_52_tpt_26_dp_ip_CI_unitstride_sbrr_dirReg
                                        ; -- End function
	.section	.AMDGPU.csdata,"",@progbits
; Kernel info:
; codeLenInByte = 9612
; NumSgprs: 50
; NumVgprs: 222
; ScratchSize: 0
; MemoryBound: 0
; FloatMode: 240
; IeeeMode: 1
; LDSByteSize: 0 bytes/workgroup (compile time only)
; SGPRBlocks: 6
; VGPRBlocks: 55
; NumSGPRsForWavesPerEU: 50
; NumVGPRsForWavesPerEU: 222
; Occupancy: 1
; WaveLimiterHint : 1
; COMPUTE_PGM_RSRC2:SCRATCH_EN: 0
; COMPUTE_PGM_RSRC2:USER_SGPR: 6
; COMPUTE_PGM_RSRC2:TRAP_HANDLER: 0
; COMPUTE_PGM_RSRC2:TGID_X_EN: 1
; COMPUTE_PGM_RSRC2:TGID_Y_EN: 0
; COMPUTE_PGM_RSRC2:TGID_Z_EN: 0
; COMPUTE_PGM_RSRC2:TIDIG_COMP_CNT: 0
	.type	__hip_cuid_61c23a9619c65064,@object ; @__hip_cuid_61c23a9619c65064
	.section	.bss,"aw",@nobits
	.globl	__hip_cuid_61c23a9619c65064
__hip_cuid_61c23a9619c65064:
	.byte	0                               ; 0x0
	.size	__hip_cuid_61c23a9619c65064, 1

	.ident	"AMD clang version 19.0.0git (https://github.com/RadeonOpenCompute/llvm-project roc-6.4.0 25133 c7fe45cf4b819c5991fe208aaa96edf142730f1d)"
	.section	".note.GNU-stack","",@progbits
	.addrsig
	.addrsig_sym __hip_cuid_61c23a9619c65064
	.amdgpu_metadata
---
amdhsa.kernels:
  - .args:
      - .actual_access:  read_only
        .address_space:  global
        .offset:         0
        .size:           8
        .value_kind:     global_buffer
      - .offset:         8
        .size:           8
        .value_kind:     by_value
      - .actual_access:  read_only
        .address_space:  global
        .offset:         16
        .size:           8
        .value_kind:     global_buffer
      - .actual_access:  read_only
        .address_space:  global
        .offset:         24
        .size:           8
        .value_kind:     global_buffer
      - .offset:         32
        .size:           8
        .value_kind:     by_value
      - .actual_access:  read_only
        .address_space:  global
        .offset:         40
        .size:           8
        .value_kind:     global_buffer
      - .actual_access:  read_only
        .address_space:  global
        .offset:         48
        .size:           8
        .value_kind:     global_buffer
      - .offset:         56
        .size:           4
        .value_kind:     by_value
      - .actual_access:  read_only
        .address_space:  global
        .offset:         64
        .size:           8
        .value_kind:     global_buffer
      - .actual_access:  read_only
        .address_space:  global
        .offset:         72
        .size:           8
        .value_kind:     global_buffer
      - .address_space:  global
        .offset:         80
        .size:           8
        .value_kind:     global_buffer
    .group_segment_fixed_size: 0
    .kernarg_segment_align: 8
    .kernarg_segment_size: 88
    .language:       OpenCL C
    .language_version:
      - 2
      - 0
    .max_flat_workgroup_size: 52
    .name:           fft_rtc_fwd_len286_factors_13_11_2_wgs_52_tpt_26_dp_ip_CI_unitstride_sbrr_dirReg
    .private_segment_fixed_size: 0
    .sgpr_count:     50
    .sgpr_spill_count: 0
    .symbol:         fft_rtc_fwd_len286_factors_13_11_2_wgs_52_tpt_26_dp_ip_CI_unitstride_sbrr_dirReg.kd
    .uniform_work_group_size: 1
    .uses_dynamic_stack: false
    .vgpr_count:     222
    .vgpr_spill_count: 0
    .wavefront_size: 64
amdhsa.target:   amdgcn-amd-amdhsa--gfx906
amdhsa.version:
  - 1
  - 2
...

	.end_amdgpu_metadata
